;; amdgpu-corpus repo=ROCm/rocFFT kind=compiled arch=gfx906 opt=O3
	.text
	.amdgcn_target "amdgcn-amd-amdhsa--gfx906"
	.amdhsa_code_object_version 6
	.protected	fft_rtc_back_len891_factors_9_11_3_3_wgs_198_tpt_99_halfLds_dp_ip_CI_unitstride_sbrr_dirReg ; -- Begin function fft_rtc_back_len891_factors_9_11_3_3_wgs_198_tpt_99_halfLds_dp_ip_CI_unitstride_sbrr_dirReg
	.globl	fft_rtc_back_len891_factors_9_11_3_3_wgs_198_tpt_99_halfLds_dp_ip_CI_unitstride_sbrr_dirReg
	.p2align	8
	.type	fft_rtc_back_len891_factors_9_11_3_3_wgs_198_tpt_99_halfLds_dp_ip_CI_unitstride_sbrr_dirReg,@function
fft_rtc_back_len891_factors_9_11_3_3_wgs_198_tpt_99_halfLds_dp_ip_CI_unitstride_sbrr_dirReg: ; @fft_rtc_back_len891_factors_9_11_3_3_wgs_198_tpt_99_halfLds_dp_ip_CI_unitstride_sbrr_dirReg
; %bb.0:
	s_load_dwordx2 s[2:3], s[4:5], 0x50
	s_load_dwordx4 s[8:11], s[4:5], 0x0
	s_load_dwordx2 s[12:13], s[4:5], 0x18
	v_mul_u32_u24_e32 v1, 0x296, v0
	v_lshrrev_b32_e32 v16, 16, v1
	v_mov_b32_e32 v3, 0
	s_waitcnt lgkmcnt(0)
	v_cmp_lt_u64_e64 s[0:1], s[10:11], 2
	v_mov_b32_e32 v1, 0
	v_lshl_add_u32 v5, s6, 1, v16
	v_mov_b32_e32 v6, v3
	s_and_b64 vcc, exec, s[0:1]
	v_mov_b32_e32 v2, 0
	s_cbranch_vccnz .LBB0_8
; %bb.1:
	s_load_dwordx2 s[0:1], s[4:5], 0x10
	s_add_u32 s6, s12, 8
	s_addc_u32 s7, s13, 0
	v_mov_b32_e32 v1, 0
	v_mov_b32_e32 v2, 0
	s_waitcnt lgkmcnt(0)
	s_add_u32 s14, s0, 8
	s_addc_u32 s15, s1, 0
	s_mov_b64 s[16:17], 1
.LBB0_2:                                ; =>This Inner Loop Header: Depth=1
	s_load_dwordx2 s[18:19], s[14:15], 0x0
                                        ; implicit-def: $vgpr7_vgpr8
	s_waitcnt lgkmcnt(0)
	v_or_b32_e32 v4, s19, v6
	v_cmp_ne_u64_e32 vcc, 0, v[3:4]
	s_and_saveexec_b64 s[0:1], vcc
	s_xor_b64 s[20:21], exec, s[0:1]
	s_cbranch_execz .LBB0_4
; %bb.3:                                ;   in Loop: Header=BB0_2 Depth=1
	v_cvt_f32_u32_e32 v4, s18
	v_cvt_f32_u32_e32 v7, s19
	s_sub_u32 s0, 0, s18
	s_subb_u32 s1, 0, s19
	v_mac_f32_e32 v4, 0x4f800000, v7
	v_rcp_f32_e32 v4, v4
	v_mul_f32_e32 v4, 0x5f7ffffc, v4
	v_mul_f32_e32 v7, 0x2f800000, v4
	v_trunc_f32_e32 v7, v7
	v_mac_f32_e32 v4, 0xcf800000, v7
	v_cvt_u32_f32_e32 v7, v7
	v_cvt_u32_f32_e32 v4, v4
	v_mul_lo_u32 v8, s0, v7
	v_mul_hi_u32 v9, s0, v4
	v_mul_lo_u32 v11, s1, v4
	v_mul_lo_u32 v10, s0, v4
	v_add_u32_e32 v8, v9, v8
	v_add_u32_e32 v8, v8, v11
	v_mul_hi_u32 v9, v4, v10
	v_mul_lo_u32 v11, v4, v8
	v_mul_hi_u32 v13, v4, v8
	v_mul_hi_u32 v12, v7, v10
	v_mul_lo_u32 v10, v7, v10
	v_mul_hi_u32 v14, v7, v8
	v_add_co_u32_e32 v9, vcc, v9, v11
	v_addc_co_u32_e32 v11, vcc, 0, v13, vcc
	v_mul_lo_u32 v8, v7, v8
	v_add_co_u32_e32 v9, vcc, v9, v10
	v_addc_co_u32_e32 v9, vcc, v11, v12, vcc
	v_addc_co_u32_e32 v10, vcc, 0, v14, vcc
	v_add_co_u32_e32 v8, vcc, v9, v8
	v_addc_co_u32_e32 v9, vcc, 0, v10, vcc
	v_add_co_u32_e32 v4, vcc, v4, v8
	v_addc_co_u32_e32 v7, vcc, v7, v9, vcc
	v_mul_lo_u32 v8, s0, v7
	v_mul_hi_u32 v9, s0, v4
	v_mul_lo_u32 v10, s1, v4
	v_mul_lo_u32 v11, s0, v4
	v_add_u32_e32 v8, v9, v8
	v_add_u32_e32 v8, v8, v10
	v_mul_lo_u32 v12, v4, v8
	v_mul_hi_u32 v13, v4, v11
	v_mul_hi_u32 v14, v4, v8
	;; [unrolled: 1-line block ×3, first 2 shown]
	v_mul_lo_u32 v11, v7, v11
	v_mul_hi_u32 v9, v7, v8
	v_add_co_u32_e32 v12, vcc, v13, v12
	v_addc_co_u32_e32 v13, vcc, 0, v14, vcc
	v_mul_lo_u32 v8, v7, v8
	v_add_co_u32_e32 v11, vcc, v12, v11
	v_addc_co_u32_e32 v10, vcc, v13, v10, vcc
	v_addc_co_u32_e32 v9, vcc, 0, v9, vcc
	v_add_co_u32_e32 v8, vcc, v10, v8
	v_addc_co_u32_e32 v9, vcc, 0, v9, vcc
	v_add_co_u32_e32 v4, vcc, v4, v8
	v_addc_co_u32_e32 v9, vcc, v7, v9, vcc
	v_mad_u64_u32 v[7:8], s[0:1], v5, v9, 0
	v_mul_hi_u32 v10, v5, v4
	v_add_co_u32_e32 v11, vcc, v10, v7
	v_addc_co_u32_e32 v12, vcc, 0, v8, vcc
	v_mad_u64_u32 v[7:8], s[0:1], v6, v4, 0
	v_mad_u64_u32 v[9:10], s[0:1], v6, v9, 0
	v_add_co_u32_e32 v4, vcc, v11, v7
	v_addc_co_u32_e32 v4, vcc, v12, v8, vcc
	v_addc_co_u32_e32 v7, vcc, 0, v10, vcc
	v_add_co_u32_e32 v4, vcc, v4, v9
	v_addc_co_u32_e32 v9, vcc, 0, v7, vcc
	v_mul_lo_u32 v10, s19, v4
	v_mul_lo_u32 v11, s18, v9
	v_mad_u64_u32 v[7:8], s[0:1], s18, v4, 0
	v_add3_u32 v8, v8, v11, v10
	v_sub_u32_e32 v10, v6, v8
	v_mov_b32_e32 v11, s19
	v_sub_co_u32_e32 v7, vcc, v5, v7
	v_subb_co_u32_e64 v10, s[0:1], v10, v11, vcc
	v_subrev_co_u32_e64 v11, s[0:1], s18, v7
	v_subbrev_co_u32_e64 v10, s[0:1], 0, v10, s[0:1]
	v_cmp_le_u32_e64 s[0:1], s19, v10
	v_cndmask_b32_e64 v12, 0, -1, s[0:1]
	v_cmp_le_u32_e64 s[0:1], s18, v11
	v_cndmask_b32_e64 v11, 0, -1, s[0:1]
	v_cmp_eq_u32_e64 s[0:1], s19, v10
	v_cndmask_b32_e64 v10, v12, v11, s[0:1]
	v_add_co_u32_e64 v11, s[0:1], 2, v4
	v_addc_co_u32_e64 v12, s[0:1], 0, v9, s[0:1]
	v_add_co_u32_e64 v13, s[0:1], 1, v4
	v_addc_co_u32_e64 v14, s[0:1], 0, v9, s[0:1]
	v_subb_co_u32_e32 v8, vcc, v6, v8, vcc
	v_cmp_ne_u32_e64 s[0:1], 0, v10
	v_cmp_le_u32_e32 vcc, s19, v8
	v_cndmask_b32_e64 v10, v14, v12, s[0:1]
	v_cndmask_b32_e64 v12, 0, -1, vcc
	v_cmp_le_u32_e32 vcc, s18, v7
	v_cndmask_b32_e64 v7, 0, -1, vcc
	v_cmp_eq_u32_e32 vcc, s19, v8
	v_cndmask_b32_e32 v7, v12, v7, vcc
	v_cmp_ne_u32_e32 vcc, 0, v7
	v_cndmask_b32_e64 v7, v13, v11, s[0:1]
	v_cndmask_b32_e32 v8, v9, v10, vcc
	v_cndmask_b32_e32 v7, v4, v7, vcc
.LBB0_4:                                ;   in Loop: Header=BB0_2 Depth=1
	s_andn2_saveexec_b64 s[0:1], s[20:21]
	s_cbranch_execz .LBB0_6
; %bb.5:                                ;   in Loop: Header=BB0_2 Depth=1
	v_cvt_f32_u32_e32 v4, s18
	s_sub_i32 s20, 0, s18
	v_rcp_iflag_f32_e32 v4, v4
	v_mul_f32_e32 v4, 0x4f7ffffe, v4
	v_cvt_u32_f32_e32 v4, v4
	v_mul_lo_u32 v7, s20, v4
	v_mul_hi_u32 v7, v4, v7
	v_add_u32_e32 v4, v4, v7
	v_mul_hi_u32 v4, v5, v4
	v_mul_lo_u32 v7, v4, s18
	v_add_u32_e32 v8, 1, v4
	v_sub_u32_e32 v7, v5, v7
	v_subrev_u32_e32 v9, s18, v7
	v_cmp_le_u32_e32 vcc, s18, v7
	v_cndmask_b32_e32 v7, v7, v9, vcc
	v_cndmask_b32_e32 v4, v4, v8, vcc
	v_add_u32_e32 v8, 1, v4
	v_cmp_le_u32_e32 vcc, s18, v7
	v_cndmask_b32_e32 v7, v4, v8, vcc
	v_mov_b32_e32 v8, v3
.LBB0_6:                                ;   in Loop: Header=BB0_2 Depth=1
	s_or_b64 exec, exec, s[0:1]
	v_mul_lo_u32 v4, v8, s18
	v_mul_lo_u32 v11, v7, s19
	v_mad_u64_u32 v[9:10], s[0:1], v7, s18, 0
	s_load_dwordx2 s[0:1], s[6:7], 0x0
	s_add_u32 s16, s16, 1
	v_add3_u32 v4, v10, v11, v4
	v_sub_co_u32_e32 v5, vcc, v5, v9
	v_subb_co_u32_e32 v4, vcc, v6, v4, vcc
	s_waitcnt lgkmcnt(0)
	v_mul_lo_u32 v4, s0, v4
	v_mul_lo_u32 v6, s1, v5
	v_mad_u64_u32 v[1:2], s[0:1], s0, v5, v[1:2]
	s_addc_u32 s17, s17, 0
	s_add_u32 s6, s6, 8
	v_add3_u32 v2, v6, v2, v4
	v_mov_b32_e32 v4, s10
	v_mov_b32_e32 v5, s11
	s_addc_u32 s7, s7, 0
	v_cmp_ge_u64_e32 vcc, s[16:17], v[4:5]
	s_add_u32 s14, s14, 8
	s_addc_u32 s15, s15, 0
	s_cbranch_vccnz .LBB0_9
; %bb.7:                                ;   in Loop: Header=BB0_2 Depth=1
	v_mov_b32_e32 v5, v7
	v_mov_b32_e32 v6, v8
	s_branch .LBB0_2
.LBB0_8:
	v_mov_b32_e32 v8, v6
	v_mov_b32_e32 v7, v5
.LBB0_9:
	s_lshl_b64 s[0:1], s[10:11], 3
	s_add_u32 s0, s12, s0
	s_addc_u32 s1, s13, s1
	s_load_dwordx2 s[6:7], s[0:1], 0x0
	s_load_dwordx2 s[10:11], s[4:5], 0x20
                                        ; implicit-def: $vgpr42_vgpr43
                                        ; implicit-def: $vgpr34_vgpr35
                                        ; implicit-def: $vgpr26_vgpr27
                                        ; implicit-def: $vgpr10_vgpr11
                                        ; implicit-def: $vgpr14_vgpr15
                                        ; implicit-def: $vgpr30_vgpr31
                                        ; implicit-def: $vgpr38_vgpr39
	s_waitcnt lgkmcnt(0)
	v_mad_u64_u32 v[1:2], s[0:1], s6, v7, v[1:2]
	v_mul_lo_u32 v3, s6, v8
	v_mul_lo_u32 v4, s7, v7
	s_mov_b32 s0, 0x295fad5
	v_mul_hi_u32 v5, v0, s0
	v_cmp_gt_u64_e64 s[0:1], s[10:11], v[7:8]
	v_add3_u32 v2, v4, v2, v3
	v_lshlrev_b64 v[46:47], 4, v[1:2]
	v_mul_u32_u24_e32 v3, 0x63, v5
	v_sub_u32_e32 v44, v0, v3
                                        ; implicit-def: $vgpr6_vgpr7
                                        ; implicit-def: $vgpr2_vgpr3
	s_and_saveexec_b64 s[4:5], s[0:1]
	s_cbranch_execz .LBB0_11
; %bb.10:
	v_mov_b32_e32 v45, 0
	v_mov_b32_e32 v0, s3
	v_add_co_u32_e32 v2, vcc, s2, v46
	v_addc_co_u32_e32 v3, vcc, v0, v47, vcc
	v_lshlrev_b64 v[0:1], 4, v[44:45]
	s_movk_i32 s6, 0x1000
	v_add_co_u32_e32 v17, vcc, v2, v0
	v_addc_co_u32_e32 v18, vcc, v3, v1, vcc
	v_add_co_u32_e32 v19, vcc, s6, v17
	v_addc_co_u32_e32 v20, vcc, 0, v18, vcc
	s_movk_i32 s6, 0x2000
	v_add_co_u32_e32 v21, vcc, s6, v17
	v_addc_co_u32_e32 v22, vcc, 0, v18, vcc
	v_add_co_u32_e32 v48, vcc, 0x3000, v17
	global_load_dwordx4 v[0:3], v[17:18], off
	global_load_dwordx4 v[4:7], v[17:18], off offset:1584
	v_addc_co_u32_e32 v49, vcc, 0, v18, vcc
	global_load_dwordx4 v[36:39], v[17:18], off offset:3168
	global_load_dwordx4 v[28:31], v[19:20], off offset:656
	;; [unrolled: 1-line block ×7, first 2 shown]
.LBB0_11:
	s_or_b64 exec, exec, s[4:5]
	s_waitcnt vmcnt(0)
	v_add_f64 v[17:18], v[6:7], -v[42:43]
	v_add_f64 v[21:22], v[14:15], -v[10:11]
	s_mov_b32 s14, 0x523c161c
	s_mov_b32 s10, 0x8c811c17
	s_mov_b32 s15, 0x3fe491b7
	s_mov_b32 s11, 0x3fef838b
	s_mov_b32 s7, 0xbfe491b7
	s_mov_b32 s6, s14
	v_add_f64 v[19:20], v[38:39], -v[34:35]
	v_mul_f64 v[48:49], v[17:18], s[14:15]
	v_mul_f64 v[50:51], v[21:22], s[6:7]
	;; [unrolled: 1-line block ×3, first 2 shown]
	v_add_f64 v[56:57], v[8:9], v[12:13]
	v_add_f64 v[58:59], v[40:41], v[4:5]
	;; [unrolled: 1-line block ×3, first 2 shown]
	s_mov_b32 s16, 0xa2cf5039
	s_mov_b32 s17, 0x3fe8836f
	v_add_f64 v[52:53], v[30:31], -v[26:27]
	v_fma_f64 v[48:49], v[19:20], s[10:11], v[48:49]
	v_fma_f64 v[50:51], v[17:18], s[10:11], v[50:51]
	v_fma_f64 v[54:55], v[19:20], s[6:7], -v[54:55]
	v_fma_f64 v[62:63], v[56:57], s[16:17], v[0:1]
	v_fma_f64 v[66:67], v[60:61], s[16:17], v[0:1]
	;; [unrolled: 1-line block ×3, first 2 shown]
	s_mov_b32 s4, 0xe8584cab
	s_mov_b32 s18, 0x7e0b738b
	;; [unrolled: 1-line block ×6, first 2 shown]
	v_fma_f64 v[48:49], v[52:53], s[4:5], v[48:49]
	v_fma_f64 v[50:51], v[52:53], s[12:13], v[50:51]
	v_add_f64 v[64:65], v[21:22], v[17:18]
	v_fma_f64 v[62:63], v[58:59], s[18:19], v[62:63]
	v_add_f64 v[70:71], v[24:25], v[28:29]
	v_add_f64 v[72:73], v[60:61], v[58:59]
	v_fma_f64 v[52:53], v[52:53], s[4:5], v[54:55]
	v_fma_f64 v[54:55], v[56:57], s[18:19], v[66:67]
	;; [unrolled: 1-line block ×3, first 2 shown]
	s_mov_b32 s20, 0x748a0bf8
	s_mov_b32 s21, 0x3fd5e3a8
	v_add_f64 v[64:65], v[64:65], -v[19:20]
	v_fma_f64 v[62:63], v[70:71], -0.5, v[62:63]
	v_add_f64 v[68:69], v[56:57], v[72:73]
	v_add_f64 v[74:75], v[70:71], v[0:1]
	;; [unrolled: 1-line block ×3, first 2 shown]
	v_fma_f64 v[19:20], v[19:20], s[20:21], v[50:51]
	v_fma_f64 v[50:51], v[70:71], -0.5, v[54:55]
	v_fma_f64 v[54:55], v[70:71], -0.5, v[66:67]
	s_mov_b32 s22, 0x42522d1b
	s_mov_b32 s23, 0xbfee11f6
	v_fma_f64 v[60:61], v[60:61], s[22:23], v[62:63]
	v_fma_f64 v[62:63], v[68:69], -0.5, v[74:75]
	v_add_f64 v[66:67], v[12:13], v[72:73]
	v_fma_f64 v[17:18], v[17:18], s[20:21], v[52:53]
	v_fma_f64 v[50:51], v[58:59], s[22:23], v[50:51]
	;; [unrolled: 1-line block ×4, first 2 shown]
	v_and_b32_e32 v16, 1, v16
	v_add_f64 v[54:55], v[60:61], -v[19:20]
	v_fma_f64 v[58:59], v[64:65], s[12:13], v[62:63]
	v_add_f64 v[60:61], v[8:9], v[66:67]
	v_mul_f64 v[62:63], v[64:65], s[4:5]
	v_add_f64 v[52:53], v[50:51], -v[17:18]
	v_mov_b32_e32 v23, 0x37b
	v_add_f64 v[56:57], v[48:49], -v[21:22]
	v_cmp_eq_u32_e32 vcc, 1, v16
	v_fma_f64 v[50:51], v[19:20], 2.0, v[54:55]
	s_movk_i32 s24, 0x48
	v_add_f64 v[48:49], v[0:1], v[60:61]
	v_fma_f64 v[64:65], v[62:63], 2.0, v[58:59]
	v_fma_f64 v[66:67], v[17:18], 2.0, v[52:53]
	v_cndmask_b32_e32 v0, 0, v23, vcc
	v_fma_f64 v[18:19], v[21:22], 2.0, v[56:57]
	v_mad_u32_u24 v60, v44, s24, 0
	s_movk_i32 s24, 0x51
	v_lshl_add_u32 v62, v0, 3, v60
	v_cmp_gt_u32_e32 vcc, s24, v44
	v_lshlrev_b32_e32 v45, 3, v0
	v_lshlrev_b32_e32 v70, 3, v44
	;; [unrolled: 1-line block ×3, first 2 shown]
	ds_write2_b64 v62, v[48:49], v[56:57] offset1:1
	ds_write2_b64 v62, v[54:55], v[58:59] offset0:2 offset1:3
	ds_write2_b64 v62, v[52:53], v[66:67] offset0:4 offset1:5
	;; [unrolled: 1-line block ×3, first 2 shown]
	ds_write_b64 v62, v[18:19] offset:64
	s_waitcnt lgkmcnt(0)
	s_barrier
	s_waitcnt lgkmcnt(0)
                                        ; implicit-def: $vgpr22_vgpr23
	s_and_saveexec_b64 s[24:25], vcc
	s_cbranch_execz .LBB0_13
; %bb.12:
	v_add3_u32 v0, 0, v45, v70
	ds_read_b64 v[48:49], v0
	v_sub_u32_e32 v0, v60, v61
	v_add_u32_e32 v0, v0, v45
	v_add_u32_e32 v16, 0x1000, v0
	ds_read2_b64 v[71:74], v0 offset0:81 offset1:162
	v_add_u32_e32 v1, 0x400, v0
	v_add_u32_e32 v20, 0x800, v0
	ds_read2_b64 v[16:19], v16 offset0:55 offset1:136
	ds_read2_b64 v[52:55], v20 offset0:149 offset1:230
	;; [unrolled: 1-line block ×3, first 2 shown]
	v_add_u32_e32 v0, 0x1400, v0
	ds_read2_b64 v[20:23], v0 offset0:89 offset1:170
	s_waitcnt lgkmcnt(3)
	v_mov_b32_e32 v51, v17
	s_waitcnt lgkmcnt(2)
	v_mov_b32_e32 v67, v53
	v_mov_b32_e32 v66, v52
	s_waitcnt lgkmcnt(1)
	v_mov_b32_e32 v52, v58
	v_mov_b32_e32 v65, v55
	;; [unrolled: 1-line block ×11, first 2 shown]
.LBB0_13:
	s_or_b64 exec, exec, s[24:25]
	v_add_f64 v[0:1], v[4:5], -v[40:41]
	v_add_f64 v[4:5], v[12:13], -v[8:9]
	v_add_f64 v[6:7], v[42:43], v[6:7]
	v_add_f64 v[8:9], v[10:11], v[14:15]
	;; [unrolled: 1-line block ×4, first 2 shown]
	v_add_f64 v[26:27], v[36:37], -v[32:33]
	v_add_f64 v[24:25], v[28:29], -v[24:25]
	v_mul_f64 v[30:31], v[0:1], s[14:15]
	v_mul_f64 v[32:33], v[4:5], s[6:7]
	v_fma_f64 v[28:29], v[6:7], s[16:17], v[2:3]
	v_fma_f64 v[34:35], v[8:9], s[16:17], v[2:3]
	v_mul_f64 v[36:37], v[4:5], s[10:11]
	v_fma_f64 v[38:39], v[12:13], s[16:17], v[2:3]
	v_add_f64 v[42:43], v[12:13], v[6:7]
	v_add_f64 v[40:41], v[4:5], v[0:1]
	v_fma_f64 v[30:31], v[26:27], s[10:11], v[30:31]
	v_fma_f64 v[32:33], v[0:1], s[10:11], v[32:33]
	;; [unrolled: 1-line block ×4, first 2 shown]
	v_fma_f64 v[36:37], v[26:27], s[6:7], -v[36:37]
	v_fma_f64 v[38:39], v[8:9], s[18:19], v[38:39]
	v_add_f64 v[68:69], v[16:17], v[2:3]
	v_add_f64 v[71:72], v[8:9], v[42:43]
	v_fma_f64 v[30:31], v[24:25], s[4:5], v[30:31]
	v_fma_f64 v[32:33], v[24:25], s[12:13], v[32:33]
	v_add_f64 v[42:43], v[16:17], v[42:43]
	v_fma_f64 v[28:29], v[16:17], -0.5, v[28:29]
	v_fma_f64 v[24:25], v[24:25], s[4:5], v[36:37]
	v_fma_f64 v[36:37], v[16:17], -0.5, v[38:39]
	v_fma_f64 v[16:17], v[16:17], -0.5, v[34:35]
	s_waitcnt lgkmcnt(0)
	v_fma_f64 v[4:5], v[4:5], s[20:21], v[30:31]
	v_fma_f64 v[30:31], v[26:27], s[20:21], v[32:33]
	v_add_f64 v[26:27], v[40:41], -v[26:27]
	v_fma_f64 v[32:33], v[71:72], -0.5, v[68:69]
	v_add_f64 v[14:15], v[14:15], v[42:43]
	v_fma_f64 v[34:35], v[0:1], s[20:21], v[24:25]
	v_fma_f64 v[0:1], v[6:7], s[22:23], v[36:37]
	;; [unrolled: 1-line block ×4, first 2 shown]
	s_barrier
	v_mul_f64 v[28:29], v[26:27], s[4:5]
	v_fma_f64 v[12:13], v[26:27], s[4:5], v[32:33]
	v_add_f64 v[14:15], v[10:11], v[14:15]
	v_add_f64 v[10:11], v[34:35], v[0:1]
	;; [unrolled: 1-line block ×4, first 2 shown]
                                        ; implicit-def: $vgpr6_vgpr7
	v_fma_f64 v[0:1], v[28:29], -2.0, v[12:13]
	v_add_f64 v[16:17], v[2:3], v[14:15]
	v_fma_f64 v[14:15], v[34:35], -2.0, v[10:11]
	v_fma_f64 v[8:9], v[30:31], -2.0, v[24:25]
	;; [unrolled: 1-line block ×3, first 2 shown]
	ds_write2_b64 v62, v[16:17], v[26:27] offset1:1
	ds_write2_b64 v62, v[24:25], v[12:13] offset0:2 offset1:3
	ds_write2_b64 v62, v[10:11], v[14:15] offset0:4 offset1:5
	;; [unrolled: 1-line block ×3, first 2 shown]
	ds_write_b64 v62, v[2:3] offset:64
	s_waitcnt lgkmcnt(0)
	s_barrier
	s_and_saveexec_b64 s[4:5], vcc
	s_cbranch_execz .LBB0_15
; %bb.14:
	v_add3_u32 v0, 0, v45, v70
	ds_read_b64 v[16:17], v0
	v_sub_u32_e32 v0, v60, v61
	v_add_u32_e32 v4, v0, v45
	v_add_u32_e32 v0, 0x1000, v4
	ds_read2_b64 v[26:29], v4 offset0:81 offset1:162
	v_add_u32_e32 v5, 0x400, v4
	v_add_u32_e32 v6, 0x800, v4
	ds_read2_b64 v[0:3], v0 offset0:55 offset1:136
	ds_read2_b64 v[10:13], v6 offset0:149 offset1:230
	;; [unrolled: 1-line block ×3, first 2 shown]
	v_add_u32_e32 v4, 0x1400, v4
	ds_read2_b64 v[4:7], v4 offset0:89 offset1:170
	s_waitcnt lgkmcnt(3)
	v_mov_b32_e32 v9, v1
	v_mov_b32_e32 v8, v0
	s_waitcnt lgkmcnt(2)
	v_mov_b32_e32 v0, v12
	v_mov_b32_e32 v15, v11
	;; [unrolled: 1-line block ×4, first 2 shown]
	s_waitcnt lgkmcnt(1)
	v_mov_b32_e32 v10, v32
	v_mov_b32_e32 v12, v30
	v_mov_b32_e32 v24, v28
	v_mov_b32_e32 v11, v33
	v_mov_b32_e32 v13, v31
	v_mov_b32_e32 v25, v29
.LBB0_15:
	s_or_b64 exec, exec, s[4:5]
	v_mov_b32_e32 v28, 57
	v_mul_lo_u16_sdwa v28, v44, v28 dst_sel:DWORD dst_unused:UNUSED_PAD src0_sel:BYTE_0 src1_sel:DWORD
	v_lshrrev_b16_e32 v68, 9, v28
	v_mul_lo_u16_e32 v28, 9, v68
	v_sub_u16_e32 v69, v44, v28
	v_mov_b32_e32 v28, 10
	v_mul_u32_u24_sdwa v28, v69, v28 dst_sel:DWORD dst_unused:UNUSED_PAD src0_sel:BYTE_0 src1_sel:DWORD
	v_lshlrev_b32_e32 v40, 4, v28
	global_load_dwordx4 v[28:31], v40, s[8:9]
	global_load_dwordx4 v[32:35], v40, s[8:9] offset:16
	global_load_dwordx4 v[36:39], v40, s[8:9] offset:32
	global_load_dwordx4 v[71:74], v40, s[8:9] offset:48
	global_load_dwordx4 v[75:78], v40, s[8:9] offset:64
	global_load_dwordx4 v[79:82], v40, s[8:9] offset:80
	global_load_dwordx4 v[83:86], v40, s[8:9] offset:96
	global_load_dwordx4 v[87:90], v40, s[8:9] offset:112
	global_load_dwordx4 v[91:94], v40, s[8:9] offset:128
	global_load_dwordx4 v[95:98], v40, s[8:9] offset:144
	s_waitcnt vmcnt(0) lgkmcnt(0)
	s_barrier
	v_mul_f64 v[40:41], v[26:27], v[30:31]
	v_mul_f64 v[30:31], v[56:57], v[30:31]
	;; [unrolled: 1-line block ×20, first 2 shown]
	v_fma_f64 v[60:61], v[56:57], v[28:29], v[40:41]
	v_fma_f64 v[62:63], v[26:27], v[28:29], -v[30:31]
	v_fma_f64 v[54:55], v[54:55], v[32:33], v[42:43]
	v_fma_f64 v[56:57], v[24:25], v[32:33], -v[34:35]
	v_fma_f64 v[40:41], v[58:59], v[36:37], v[99:100]
	v_fma_f64 v[42:43], v[12:13], v[36:37], -v[38:39]
	v_fma_f64 v[32:33], v[52:53], v[71:72], v[101:102]
	v_fma_f64 v[36:37], v[10:11], v[71:72], -v[73:74]
	v_fma_f64 v[24:25], v[66:67], v[75:76], v[103:104]
	v_fma_f64 v[28:29], v[14:15], v[75:76], -v[77:78]
	v_fma_f64 v[26:27], v[64:65], v[79:80], v[105:106]
	v_fma_f64 v[30:31], v[0:1], v[79:80], -v[81:82]
	v_fma_f64 v[34:35], v[50:51], v[83:84], v[107:108]
	v_fma_f64 v[38:39], v[8:9], v[83:84], -v[85:86]
	v_fma_f64 v[18:19], v[18:19], v[87:88], v[109:110]
	v_fma_f64 v[50:51], v[2:3], v[87:88], -v[89:90]
	v_fma_f64 v[58:59], v[20:21], v[91:92], v[111:112]
	v_fma_f64 v[52:53], v[4:5], v[91:92], -v[93:94]
	v_fma_f64 v[64:65], v[22:23], v[95:96], v[113:114]
	v_fma_f64 v[20:21], v[6:7], v[95:96], -v[97:98]
	s_and_saveexec_b64 s[4:5], vcc
	s_cbranch_execz .LBB0_17
; %bb.16:
	v_add_f64 v[0:1], v[62:63], -v[20:21]
	s_mov_b32 s10, 0xfd768dbf
	s_mov_b32 s11, 0xbfd207e7
	v_add_f64 v[6:7], v[56:57], -v[52:53]
	v_add_f64 v[8:9], v[60:61], v[64:65]
	s_mov_b32 s12, 0xf8bb580b
	s_mov_b32 s6, 0x9bcd5057
	;; [unrolled: 1-line block ×3, first 2 shown]
	v_mul_f64 v[10:11], v[0:1], s[10:11]
	s_mov_b32 s7, 0xbfeeb42a
	v_add_f64 v[14:15], v[54:55], v[58:59]
	v_mul_f64 v[22:23], v[6:7], s[12:13]
	v_add_f64 v[71:72], v[42:43], -v[50:51]
	s_mov_b32 s18, 0xbb3a28a1
	s_mov_b32 s14, 0x8764f0ba
	s_mov_b32 s19, 0xbfe82f19
	v_fma_f64 v[66:67], v[8:9], s[6:7], -v[10:11]
	v_fma_f64 v[10:11], v[8:9], s[6:7], v[10:11]
	s_mov_b32 s15, 0x3feaeb8c
	v_add_f64 v[4:5], v[36:37], -v[38:39]
	v_add_f64 v[12:13], v[40:41], v[18:19]
	v_fma_f64 v[73:74], v[14:15], s[14:15], -v[22:23]
	v_mul_f64 v[75:76], v[71:72], s[18:19]
	v_fma_f64 v[22:23], v[14:15], s[14:15], v[22:23]
	v_add_f64 v[66:67], v[48:49], v[66:67]
	v_add_f64 v[10:11], v[48:49], v[10:11]
	s_mov_b32 s20, 0x7f775887
	s_mov_b32 s17, 0x3fed1bb4
	;; [unrolled: 1-line block ×4, first 2 shown]
	v_add_f64 v[2:3], v[32:33], v[34:35]
	v_mul_f64 v[77:78], v[4:5], s[16:17]
	v_add_f64 v[66:67], v[73:74], v[66:67]
	v_fma_f64 v[73:74], v[12:13], s[20:21], -v[75:76]
	v_fma_f64 v[75:76], v[12:13], s[20:21], v[75:76]
	v_add_f64 v[10:11], v[22:23], v[10:11]
	v_mul_f64 v[22:23], v[0:1], s[18:19]
	s_mov_b32 s22, 0xd9c712b6
	s_mov_b32 s24, 0x43842ef
	s_mov_b32 s23, 0x3fda9628
	s_mov_b32 s25, 0xbfefac9e
	s_mov_b32 s29, 0x3fefac9e
	s_mov_b32 s28, s24
	v_fma_f64 v[79:80], v[2:3], s[22:23], -v[77:78]
	v_add_f64 v[10:11], v[75:76], v[10:11]
	v_fma_f64 v[75:76], v[8:9], s[20:21], -v[22:23]
	v_mul_f64 v[81:82], v[6:7], s[28:29]
	v_fma_f64 v[77:78], v[2:3], s[22:23], v[77:78]
	v_mul_f64 v[87:88], v[0:1], s[24:25]
	s_mov_b32 s26, 0x640f44db
	s_mov_b32 s27, 0xbfc2375f
	;; [unrolled: 1-line block ×6, first 2 shown]
	v_add_f64 v[75:76], v[48:49], v[75:76]
	v_fma_f64 v[85:86], v[14:15], s[26:27], -v[81:82]
	v_mul_f64 v[89:90], v[71:72], s[30:31]
	v_add_f64 v[10:11], v[77:78], v[10:11]
	v_fma_f64 v[77:78], v[8:9], s[26:27], -v[87:88]
	v_mul_f64 v[91:92], v[6:7], s[34:35]
	v_fma_f64 v[22:23], v[8:9], s[20:21], v[22:23]
	v_mul_f64 v[93:94], v[4:5], s[10:11]
	v_fma_f64 v[87:88], v[8:9], s[26:27], v[87:88]
	v_add_f64 v[75:76], v[85:86], v[75:76]
	v_fma_f64 v[85:86], v[12:13], s[14:15], -v[89:90]
	v_add_f64 v[66:67], v[73:74], v[66:67]
	v_add_f64 v[77:78], v[48:49], v[77:78]
	v_fma_f64 v[97:98], v[14:15], s[6:7], -v[91:92]
	v_add_f64 v[73:74], v[28:29], -v[30:31]
	v_fma_f64 v[81:82], v[14:15], s[26:27], v[81:82]
	v_add_f64 v[22:23], v[48:49], v[22:23]
	v_mul_f64 v[99:100], v[71:72], s[16:17]
	v_add_f64 v[75:76], v[85:86], v[75:76]
	v_fma_f64 v[85:86], v[2:3], s[6:7], -v[93:94]
	v_fma_f64 v[91:92], v[14:15], s[6:7], v[91:92]
	v_add_f64 v[77:78], v[97:98], v[77:78]
	v_add_f64 v[87:88], v[48:49], v[87:88]
	;; [unrolled: 1-line block ×5, first 2 shown]
	v_mul_f64 v[79:80], v[73:74], s[24:25]
	v_add_f64 v[22:23], v[81:82], v[22:23]
	v_fma_f64 v[81:82], v[12:13], s[14:15], v[89:90]
	v_fma_f64 v[89:90], v[12:13], s[22:23], -v[99:100]
	v_add_f64 v[75:76], v[85:86], v[75:76]
	v_mul_f64 v[85:86], v[4:5], s[30:31]
	v_add_f64 v[87:88], v[91:92], v[87:88]
	v_add_f64 v[91:92], v[97:98], v[54:55]
	v_mul_f64 v[101:102], v[73:74], s[16:17]
	s_mov_b32 s17, 0xbfed1bb4
	v_fma_f64 v[95:96], v[83:84], s[26:27], -v[79:80]
	v_fma_f64 v[79:80], v[83:84], s[26:27], v[79:80]
	v_add_f64 v[22:23], v[81:82], v[22:23]
	v_fma_f64 v[81:82], v[2:3], s[6:7], v[93:94]
	v_add_f64 v[77:78], v[89:90], v[77:78]
	v_mul_f64 v[89:90], v[0:1], s[16:17]
	v_fma_f64 v[93:94], v[2:3], s[14:15], -v[85:86]
	v_add_f64 v[91:92], v[91:92], v[40:41]
	v_add_f64 v[66:67], v[95:96], v[66:67]
	v_fma_f64 v[95:96], v[83:84], s[22:23], -v[101:102]
	v_add_f64 v[10:11], v[79:80], v[10:11]
	v_add_f64 v[22:23], v[81:82], v[22:23]
	v_mul_f64 v[81:82], v[6:7], s[18:19]
	v_fma_f64 v[79:80], v[8:9], s[22:23], -v[89:90]
	v_add_f64 v[77:78], v[93:94], v[77:78]
	v_fma_f64 v[89:90], v[8:9], s[22:23], v[89:90]
	v_fma_f64 v[93:94], v[12:13], s[22:23], v[99:100]
	v_mul_f64 v[0:1], v[0:1], s[30:31]
	v_add_f64 v[91:92], v[91:92], v[32:33]
	v_add_f64 v[75:76], v[95:96], v[75:76]
	v_fma_f64 v[95:96], v[14:15], s[20:21], -v[81:82]
	v_add_f64 v[79:80], v[48:49], v[79:80]
	v_mul_f64 v[97:98], v[71:72], s[34:35]
	v_fma_f64 v[81:82], v[14:15], s[20:21], v[81:82]
	v_add_f64 v[89:90], v[48:49], v[89:90]
	v_add_f64 v[87:88], v[93:94], v[87:88]
	v_fma_f64 v[93:94], v[8:9], s[14:15], -v[0:1]
	v_mul_f64 v[6:7], v[6:7], s[16:17]
	v_fma_f64 v[0:1], v[8:9], s[14:15], v[0:1]
	v_mul_f64 v[8:9], v[71:72], s[24:25]
	v_add_f64 v[71:72], v[91:92], v[24:25]
	v_add_f64 v[79:80], v[95:96], v[79:80]
	v_fma_f64 v[95:96], v[12:13], s[6:7], -v[97:98]
	v_mul_f64 v[99:100], v[4:5], s[28:29]
	v_add_f64 v[81:82], v[81:82], v[89:90]
	v_fma_f64 v[89:90], v[12:13], s[6:7], v[97:98]
	v_add_f64 v[93:94], v[48:49], v[93:94]
	v_fma_f64 v[97:98], v[14:15], s[22:23], -v[6:7]
	v_fma_f64 v[6:7], v[14:15], s[22:23], v[6:7]
	v_add_f64 v[0:1], v[48:49], v[0:1]
	v_add_f64 v[48:49], v[71:72], v[26:27]
	v_fma_f64 v[14:15], v[12:13], s[26:27], -v[8:9]
	v_mul_f64 v[4:5], v[4:5], s[18:19]
	v_add_f64 v[81:82], v[89:90], v[81:82]
	v_fma_f64 v[71:72], v[2:3], s[26:27], v[99:100]
	v_add_f64 v[89:90], v[97:98], v[93:94]
	v_fma_f64 v[8:9], v[12:13], s[26:27], v[8:9]
	v_add_f64 v[0:1], v[6:7], v[0:1]
	v_add_f64 v[12:13], v[48:49], v[34:35]
	v_fma_f64 v[85:86], v[2:3], s[14:15], v[85:86]
	v_fma_f64 v[91:92], v[2:3], s[26:27], -v[99:100]
	v_add_f64 v[79:80], v[95:96], v[79:80]
	v_add_f64 v[48:49], v[71:72], v[81:82]
	;; [unrolled: 1-line block ×3, first 2 shown]
	v_fma_f64 v[14:15], v[2:3], s[20:21], -v[4:5]
	v_mul_f64 v[71:72], v[73:74], s[18:19]
	v_fma_f64 v[2:3], v[2:3], s[20:21], v[4:5]
	v_mul_f64 v[4:5], v[73:74], s[12:13]
	v_mul_f64 v[73:74], v[73:74], s[10:11]
	v_add_f64 v[0:1], v[8:9], v[0:1]
	v_add_f64 v[8:9], v[12:13], v[18:19]
	;; [unrolled: 1-line block ×4, first 2 shown]
	v_fma_f64 v[12:13], v[83:84], s[22:23], v[101:102]
	v_fma_f64 v[14:15], v[83:84], s[20:21], -v[71:72]
	v_fma_f64 v[71:72], v[83:84], s[20:21], v[71:72]
	v_fma_f64 v[87:88], v[83:84], s[6:7], v[73:74]
	v_add_f64 v[0:1], v[2:3], v[0:1]
	v_add_f64 v[2:3], v[8:9], v[58:59]
	v_fma_f64 v[81:82], v[83:84], s[14:15], -v[4:5]
	v_fma_f64 v[4:5], v[83:84], s[14:15], v[4:5]
	v_add_f64 v[79:80], v[91:92], v[79:80]
	v_fma_f64 v[8:9], v[83:84], s[6:7], -v[73:74]
	v_add_f64 v[12:13], v[12:13], v[22:23]
	v_add_f64 v[22:23], v[71:72], v[85:86]
	;; [unrolled: 1-line block ×8, first 2 shown]
	s_movk_i32 s6, 0x318
	v_mov_b32_e32 v9, 3
	v_mad_u32_u24 v8, v68, s6, 0
	v_lshlrev_b32_sdwa v9, v9, v69 dst_sel:DWORD dst_unused:UNUSED_PAD src0_sel:DWORD src1_sel:BYTE_0
	v_add3_u32 v8, v8, v9, v45
	ds_write2_b64 v8, v[2:3], v[0:1] offset1:9
	ds_write2_b64 v8, v[4:5], v[22:23] offset0:18 offset1:27
	ds_write2_b64 v8, v[12:13], v[10:11] offset0:36 offset1:45
	;; [unrolled: 1-line block ×4, first 2 shown]
	ds_write_b64 v8, v[6:7] offset:720
.LBB0_17:
	s_or_b64 exec, exec, s[4:5]
	v_add3_u32 v49, 0, v70, v45
	v_add3_u32 v48, 0, v45, v70
	v_add_u32_e32 v66, 0x800, v49
	v_add_u32_e32 v67, 0xc00, v49
	;; [unrolled: 1-line block ×3, first 2 shown]
	s_waitcnt lgkmcnt(0)
	s_barrier
	ds_read_b64 v[22:23], v48
	ds_read2_b64 v[12:15], v66 offset0:41 offset1:140
	ds_read2_b64 v[4:7], v67 offset0:111 offset1:210
	;; [unrolled: 1-line block ×4, first 2 shown]
	s_waitcnt lgkmcnt(0)
	s_barrier
	s_and_saveexec_b64 s[4:5], vcc
	s_cbranch_execz .LBB0_19
; %bb.18:
	v_add_f64 v[71:72], v[16:17], v[62:63]
	v_add_f64 v[60:61], v[60:61], -v[64:65]
	v_add_f64 v[62:63], v[62:63], v[20:21]
	s_mov_b32 s12, 0x8764f0ba
	s_mov_b32 s13, 0x3feaeb8c
	v_add_f64 v[54:55], v[54:55], -v[58:59]
	s_mov_b32 s6, 0xf8bb580b
	s_mov_b32 s16, 0xd9c712b6
	v_add_f64 v[64:65], v[71:72], v[56:57]
	v_add_f64 v[56:57], v[56:57], v[52:53]
	v_mul_f64 v[58:59], v[62:63], s[12:13]
	s_mov_b32 s22, 0x640f44db
	s_mov_b32 s30, 0x7f775887
	;; [unrolled: 1-line block ×5, first 2 shown]
	v_add_f64 v[64:65], v[64:65], v[42:43]
	s_mov_b32 s23, 0xbfc2375f
	s_mov_b32 s31, 0xbfe4f49e
	s_mov_b32 s37, 0xbfeeb42a
	v_mul_f64 v[71:72], v[62:63], s[16:17]
	v_mul_f64 v[73:74], v[62:63], s[22:23]
	;; [unrolled: 1-line block ×4, first 2 shown]
	v_add_f64 v[64:65], v[64:65], v[36:37]
	v_mul_f64 v[77:78], v[56:57], s[16:17]
	v_fma_f64 v[83:84], v[60:61], s[6:7], v[58:59]
	s_mov_b32 s14, 0x8eee2c13
	s_mov_b32 s20, 0x43842ef
	;; [unrolled: 1-line block ×5, first 2 shown]
	v_add_f64 v[64:65], v[64:65], v[28:29]
	s_mov_b32 s15, 0x3fed1bb4
	s_mov_b32 s19, 0xbfed1bb4
	;; [unrolled: 1-line block ×7, first 2 shown]
	v_add_f64 v[64:65], v[64:65], v[30:31]
	s_mov_b32 s39, 0xbfd207e7
	s_mov_b32 s10, s6
	s_mov_b32 s18, s14
	s_mov_b32 s24, s20
	s_mov_b32 s28, s26
	s_mov_b32 s38, s34
	v_mul_f64 v[79:80], v[56:57], s[30:31]
	v_add_f64 v[64:65], v[64:65], v[38:39]
	v_fma_f64 v[58:59], v[60:61], s[10:11], v[58:59]
	v_fma_f64 v[85:86], v[60:61], s[14:15], v[71:72]
	;; [unrolled: 1-line block ×7, first 2 shown]
	v_add_f64 v[64:65], v[64:65], v[50:51]
	v_fma_f64 v[91:92], v[60:61], s[34:35], v[62:63]
	v_fma_f64 v[60:61], v[60:61], s[38:39], v[62:63]
	v_fma_f64 v[62:63], v[54:55], s[14:15], v[77:78]
	v_add_f64 v[83:84], v[16:17], v[83:84]
	v_mul_f64 v[81:82], v[56:57], s[36:37]
	v_fma_f64 v[77:78], v[54:55], s[18:19], v[77:78]
	v_add_f64 v[58:59], v[16:17], v[58:59]
	v_add_f64 v[52:53], v[64:65], v[52:53]
	;; [unrolled: 1-line block ×10, first 2 shown]
	v_fma_f64 v[52:53], v[54:55], s[26:27], v[79:80]
	v_add_f64 v[16:17], v[16:17], v[60:61]
	v_add_f64 v[60:61], v[62:63], v[83:84]
	v_fma_f64 v[62:63], v[54:55], s[28:29], v[79:80]
	v_mul_f64 v[79:80], v[56:57], s[22:23]
	v_add_f64 v[42:43], v[42:43], v[50:51]
	v_mul_f64 v[56:57], v[56:57], s[12:13]
	v_add_f64 v[58:59], v[77:78], v[58:59]
	v_add_f64 v[52:53], v[52:53], v[64:65]
	v_fma_f64 v[64:65], v[54:55], s[34:35], v[81:82]
	v_add_f64 v[18:19], v[40:41], -v[18:19]
	v_add_f64 v[62:63], v[62:63], v[71:72]
	v_fma_f64 v[71:72], v[54:55], s[24:25], v[79:80]
	v_mul_f64 v[40:41], v[42:43], s[22:23]
	v_fma_f64 v[77:78], v[54:55], s[20:21], v[79:80]
	v_fma_f64 v[79:80], v[54:55], s[10:11], v[56:57]
	;; [unrolled: 1-line block ×3, first 2 shown]
	v_add_f64 v[64:65], v[64:65], v[73:74]
	v_mul_f64 v[73:74], v[42:43], s[36:37]
	v_fma_f64 v[54:55], v[54:55], s[6:7], v[56:57]
	v_add_f64 v[36:37], v[36:37], v[38:39]
	v_fma_f64 v[56:57], v[18:19], s[20:21], v[40:41]
	v_add_f64 v[75:76], v[77:78], v[75:76]
	v_add_f64 v[77:78], v[79:80], v[89:90]
	v_mul_f64 v[79:80], v[42:43], s[16:17]
	v_add_f64 v[50:51], v[50:51], v[85:86]
	v_fma_f64 v[40:41], v[18:19], s[24:25], v[40:41]
	v_fma_f64 v[81:82], v[18:19], s[38:39], v[73:74]
	;; [unrolled: 1-line block ×3, first 2 shown]
	v_add_f64 v[16:17], v[54:55], v[16:17]
	v_add_f64 v[54:55], v[56:57], v[60:61]
	v_mul_f64 v[38:39], v[42:43], s[12:13]
	v_fma_f64 v[56:57], v[18:19], s[18:19], v[79:80]
	v_mul_f64 v[42:43], v[42:43], s[30:31]
	v_add_f64 v[32:33], v[32:33], -v[34:35]
	v_mul_f64 v[34:35], v[36:37], s[30:31]
	v_add_f64 v[71:72], v[71:72], v[87:88]
	v_add_f64 v[40:41], v[40:41], v[58:59]
	;; [unrolled: 1-line block ×3, first 2 shown]
	v_fma_f64 v[60:61], v[18:19], s[14:15], v[79:80]
	v_fma_f64 v[62:63], v[18:19], s[6:7], v[38:39]
	v_add_f64 v[50:51], v[56:57], v[50:51]
	v_mul_f64 v[56:57], v[36:37], s[22:23]
	v_fma_f64 v[73:74], v[18:19], s[26:27], v[42:43]
	v_fma_f64 v[38:39], v[18:19], s[10:11], v[38:39]
	;; [unrolled: 1-line block ×4, first 2 shown]
	v_add_f64 v[52:53], v[81:82], v[52:53]
	v_add_f64 v[60:61], v[60:61], v[64:65]
	;; [unrolled: 1-line block ×3, first 2 shown]
	v_fma_f64 v[64:65], v[32:33], s[24:25], v[56:57]
	v_add_f64 v[71:72], v[73:74], v[77:78]
	v_mul_f64 v[73:74], v[36:37], s[12:13]
	v_fma_f64 v[34:35], v[32:33], s[28:29], v[34:35]
	v_add_f64 v[16:17], v[18:19], v[16:17]
	v_add_f64 v[18:19], v[42:43], v[54:55]
	v_mul_f64 v[42:43], v[36:37], s[36:37]
	v_add_f64 v[28:29], v[28:29], v[30:31]
	v_add_f64 v[30:31], v[64:65], v[52:53]
	v_mul_f64 v[36:37], v[36:37], s[16:17]
	v_fma_f64 v[52:53], v[32:33], s[6:7], v[73:74]
	v_add_f64 v[38:39], v[38:39], v[75:76]
	v_add_f64 v[34:35], v[34:35], v[40:41]
	v_fma_f64 v[40:41], v[32:33], s[20:21], v[56:57]
	v_fma_f64 v[56:57], v[32:33], s[34:35], v[42:43]
	v_add_f64 v[24:25], v[24:25], -v[26:27]
	v_mul_f64 v[26:27], v[28:29], s[36:37]
	v_fma_f64 v[42:43], v[32:33], s[38:39], v[42:43]
	v_fma_f64 v[54:55], v[32:33], s[10:11], v[73:74]
	v_add_f64 v[50:51], v[52:53], v[50:51]
	v_fma_f64 v[52:53], v[32:33], s[18:19], v[36:37]
	v_fma_f64 v[32:33], v[32:33], s[14:15], v[36:37]
	v_add_f64 v[40:41], v[40:41], v[58:59]
	v_add_f64 v[36:37], v[56:57], v[62:63]
	v_fma_f64 v[56:57], v[24:25], s[34:35], v[26:27]
	v_add_f64 v[38:39], v[42:43], v[38:39]
	v_fma_f64 v[26:27], v[24:25], s[38:39], v[26:27]
	v_mul_f64 v[42:43], v[28:29], s[12:13]
	v_mul_f64 v[58:59], v[28:29], s[30:31]
	v_add_f64 v[16:17], v[32:33], v[16:17]
	v_mul_f64 v[32:33], v[28:29], s[16:17]
	v_mul_f64 v[28:29], v[28:29], s[22:23]
	v_add_f64 v[18:19], v[56:57], v[18:19]
	v_add_f64 v[54:55], v[54:55], v[60:61]
	;; [unrolled: 1-line block ×3, first 2 shown]
	v_fma_f64 v[34:35], v[24:25], s[10:11], v[42:43]
	v_fma_f64 v[56:57], v[24:25], s[26:27], v[58:59]
	v_add_f64 v[52:53], v[52:53], v[71:72]
	v_fma_f64 v[60:61], v[24:25], s[18:19], v[32:33]
	v_fma_f64 v[32:33], v[24:25], s[14:15], v[32:33]
	;; [unrolled: 1-line block ×6, first 2 shown]
	v_add_f64 v[28:29], v[34:35], v[30:31]
	v_add_f64 v[34:35], v[56:57], v[50:51]
	;; [unrolled: 1-line block ×8, first 2 shown]
	s_movk_i32 s6, 0x318
	v_mov_b32_e32 v25, 3
	v_mad_u32_u24 v24, v68, s6, 0
	v_lshlrev_b32_sdwa v25, v25, v69 dst_sel:DWORD dst_unused:UNUSED_PAD src0_sel:DWORD src1_sel:BYTE_0
	v_add3_u32 v24, v24, v25, v45
	ds_write2_b64 v24, v[20:21], v[18:19] offset1:9
	ds_write2_b64 v24, v[28:29], v[34:35] offset0:18 offset1:27
	ds_write2_b64 v24, v[36:37], v[38:39] offset0:36 offset1:45
	;; [unrolled: 1-line block ×4, first 2 shown]
	ds_write_b64 v24, v[26:27] offset:720
.LBB0_19:
	s_or_b64 exec, exec, s[4:5]
	v_lshlrev_b32_e32 v16, 1, v44
	v_mov_b32_e32 v17, 0
	v_lshlrev_b64 v[18:19], 4, v[16:17]
	v_mov_b32_e32 v16, s9
	v_add_co_u32_e32 v18, vcc, s8, v18
	v_add_u32_e32 v24, 0xc6, v44
	s_mov_b32 s4, 0xa57f
	v_addc_co_u32_e32 v19, vcc, v16, v19, vcc
	v_mul_u32_u24_sdwa v16, v24, s4 dst_sel:DWORD dst_unused:UNUSED_PAD src0_sel:WORD_0 src1_sel:DWORD
	v_lshrrev_b32_e32 v16, 22, v16
	s_waitcnt lgkmcnt(0)
	s_barrier
	global_load_dwordx4 v[25:28], v[18:19], off offset:1456
	global_load_dwordx4 v[29:32], v[18:19], off offset:1440
	v_mul_lo_u16_e32 v16, 0x63, v16
	v_sub_u16_e32 v16, v24, v16
	v_lshlrev_b32_e32 v20, 5, v16
	global_load_dwordx4 v[33:36], v20, s[8:9] offset:1440
	global_load_dwordx4 v[37:40], v20, s[8:9] offset:1456
	ds_read_b64 v[20:21], v48
	ds_read2_b64 v[50:53], v66 offset0:41 offset1:140
	ds_read2_b64 v[54:57], v67 offset0:111 offset1:210
	;; [unrolled: 1-line block ×4, first 2 shown]
	s_mov_b32 s4, 0xe8584caa
	s_mov_b32 s5, 0xbfebb67a
	;; [unrolled: 1-line block ×4, first 2 shown]
	v_lshlrev_b32_e32 v16, 3, v16
	v_add3_u32 v16, 0, v16, v45
	v_add_u32_e32 v43, 0x400, v49
	s_waitcnt vmcnt(0) lgkmcnt(0)
	s_barrier
	v_add_u32_e32 v45, 0x1000, v16
	s_movk_i32 s10, 0x1000
	v_mul_f64 v[71:72], v[56:57], v[27:28]
	v_mul_f64 v[41:42], v[50:51], v[31:32]
	;; [unrolled: 1-line block ×12, first 2 shown]
	v_fma_f64 v[12:13], v[12:13], v[29:30], v[41:42]
	v_fma_f64 v[6:7], v[6:7], v[25:26], v[71:72]
	v_fma_f64 v[41:42], v[50:51], v[29:30], -v[68:69]
	v_fma_f64 v[50:51], v[56:57], v[25:26], -v[73:74]
	v_fma_f64 v[14:15], v[14:15], v[29:30], v[75:76]
	v_fma_f64 v[8:9], v[8:9], v[25:26], v[77:78]
	v_fma_f64 v[4:5], v[4:5], v[33:34], v[79:80]
	v_fma_f64 v[10:11], v[10:11], v[37:38], v[81:82]
	v_fma_f64 v[29:30], v[52:53], v[29:30], -v[31:32]
	v_fma_f64 v[25:26], v[62:63], v[25:26], -v[27:28]
	;; [unrolled: 1-line block ×4, first 2 shown]
	v_add_f64 v[35:36], v[12:13], v[6:7]
	v_add_f64 v[37:38], v[41:42], -v[50:51]
	v_add_f64 v[39:40], v[20:21], v[41:42]
	v_add_f64 v[41:42], v[41:42], v[50:51]
	;; [unrolled: 1-line block ×5, first 2 shown]
	v_add_f64 v[56:57], v[29:30], -v[25:26]
	v_add_f64 v[62:63], v[58:59], v[29:30]
	v_add_f64 v[29:30], v[29:30], v[25:26]
	v_add_f64 v[71:72], v[27:28], -v[31:32]
	v_add_f64 v[73:74], v[60:61], v[27:28]
	v_add_f64 v[27:28], v[27:28], v[31:32]
	v_fma_f64 v[22:23], v[35:36], -0.5, v[22:23]
	v_add_f64 v[52:53], v[0:1], v[14:15]
	v_add_f64 v[12:13], v[12:13], -v[6:7]
	v_fma_f64 v[20:21], v[41:42], -0.5, v[20:21]
	v_fma_f64 v[0:1], v[54:55], -0.5, v[0:1]
	v_add_f64 v[64:65], v[2:3], v[4:5]
	v_fma_f64 v[2:3], v[68:69], -0.5, v[2:3]
	v_add_f64 v[14:15], v[14:15], -v[8:9]
	v_add_f64 v[4:5], v[4:5], -v[10:11]
	v_add_f64 v[6:7], v[33:34], v[6:7]
	v_fma_f64 v[29:30], v[29:30], -0.5, v[58:59]
	v_fma_f64 v[27:28], v[27:28], -0.5, v[60:61]
	v_fma_f64 v[35:36], v[37:38], s[4:5], v[22:23]
	v_add_f64 v[8:9], v[52:53], v[8:9]
	v_fma_f64 v[22:23], v[37:38], s[6:7], v[22:23]
	v_add_f64 v[33:34], v[39:40], v[50:51]
	v_fma_f64 v[37:38], v[12:13], s[6:7], v[20:21]
	v_fma_f64 v[39:40], v[12:13], s[4:5], v[20:21]
	v_fma_f64 v[12:13], v[56:57], s[4:5], v[0:1]
	v_fma_f64 v[0:1], v[56:57], s[6:7], v[0:1]
	v_add_f64 v[10:11], v[64:65], v[10:11]
	v_fma_f64 v[20:21], v[71:72], s[4:5], v[2:3]
	v_fma_f64 v[2:3], v[71:72], s[6:7], v[2:3]
	;; [unrolled: 1-line block ×6, first 2 shown]
	ds_write2_b64 v49, v[6:7], v[35:36] offset1:99
	ds_write2_b64 v43, v[22:23], v[8:9] offset0:70 offset1:169
	ds_write2_b64 v66, v[12:13], v[0:1] offset0:140 offset1:239
	;; [unrolled: 1-line block ×3, first 2 shown]
	ds_write_b64 v16, v[2:3] offset:6336
	s_waitcnt lgkmcnt(0)
	s_barrier
	ds_read_b64 v[20:21], v48
	ds_read2_b64 v[12:15], v66 offset0:41 offset1:140
	ds_read2_b64 v[4:7], v67 offset0:111 offset1:210
	;; [unrolled: 1-line block ×4, first 2 shown]
	v_add_f64 v[25:26], v[62:63], v[25:26]
	v_add_f64 v[31:32], v[73:74], v[31:32]
	s_waitcnt lgkmcnt(0)
	s_barrier
	ds_write2_b64 v49, v[33:34], v[37:38] offset1:99
	ds_write2_b64 v43, v[39:40], v[25:26] offset0:70 offset1:169
	ds_write2_b64 v66, v[41:42], v[29:30] offset0:140 offset1:239
	;; [unrolled: 1-line block ×3, first 2 shown]
	ds_write_b64 v16, v[27:28] offset:6336
	s_waitcnt lgkmcnt(0)
	s_barrier
	s_and_saveexec_b64 s[12:13], s[0:1]
	s_cbranch_execz .LBB0_21
; %bb.20:
	v_lshlrev_b32_e32 v16, 1, v24
	v_lshlrev_b64 v[22:23], 4, v[16:17]
	v_mov_b32_e32 v27, s9
	v_add_co_u32_e32 v16, vcc, s8, v22
	v_addc_co_u32_e32 v45, vcc, v27, v23, vcc
	v_add_co_u32_e32 v22, vcc, 0x1200, v16
	v_addc_co_u32_e32 v23, vcc, 0, v45, vcc
	v_add_co_u32_e32 v41, vcc, 0x1000, v16
	v_mov_b32_e32 v16, 0xc6
	v_lshl_add_u32 v16, v44, 1, v16
	v_lshlrev_b64 v[25:26], 4, v[16:17]
	s_movk_i32 s9, 0x1200
	v_add_co_u32_e64 v16, s[0:1], s8, v25
	v_addc_co_u32_e64 v25, s[0:1], v27, v26, s[0:1]
	v_add_co_u32_e64 v42, s[0:1], s9, v16
	v_addc_co_u32_e64 v43, s[0:1], 0, v25, s[0:1]
	;; [unrolled: 2-line block ×5, first 2 shown]
	global_load_dwordx4 v[25:28], v[25:26], off offset:512
	s_nop 0
	global_load_dwordx4 v[29:32], v[18:19], off offset:16
	global_load_dwordx4 v[33:36], v[50:51], off offset:512
	;; [unrolled: 1-line block ×3, first 2 shown]
	v_addc_co_u32_e32 v42, vcc, 0, v45, vcc
	global_load_dwordx4 v[50:53], v[41:42], off offset:512
	global_load_dwordx4 v[54:57], v[22:23], off offset:16
	v_add_u32_e32 v18, 0x800, v49
	ds_read2_b64 v[58:61], v49 offset0:99 offset1:198
	v_add_u32_e32 v16, 0xc00, v49
	v_add_u32_e32 v22, 0x1400, v49
	ds_read2_b64 v[62:65], v18 offset0:41 offset1:140
	ds_read_b64 v[18:19], v48
	ds_read2_b64 v[66:69], v16 offset0:111 offset1:210
	ds_read2_b64 v[70:73], v22 offset0:53 offset1:152
	v_mov_b32_e32 v45, v17
	s_movk_i32 s0, 0x2000
	s_waitcnt vmcnt(4)
	v_mul_f64 v[41:42], v[6:7], v[31:32]
	v_mul_f64 v[22:23], v[12:13], v[27:28]
	s_waitcnt lgkmcnt(3)
	v_mul_f64 v[27:28], v[62:63], v[27:28]
	s_waitcnt lgkmcnt(1)
	v_mul_f64 v[31:32], v[68:69], v[31:32]
	s_waitcnt vmcnt(3)
	v_mul_f64 v[48:49], v[14:15], v[35:36]
	s_waitcnt vmcnt(2)
	v_mul_f64 v[74:75], v[8:9], v[39:40]
	s_waitcnt vmcnt(1)
	v_mul_f64 v[76:77], v[4:5], v[52:53]
	s_waitcnt vmcnt(0)
	v_mul_f64 v[78:79], v[10:11], v[56:57]
	v_mul_f64 v[52:53], v[66:67], v[52:53]
	s_waitcnt lgkmcnt(0)
	v_mul_f64 v[56:57], v[72:73], v[56:57]
	v_mul_f64 v[35:36], v[64:65], v[35:36]
	;; [unrolled: 1-line block ×3, first 2 shown]
	v_fma_f64 v[22:23], v[62:63], v[25:26], -v[22:23]
	v_fma_f64 v[12:13], v[12:13], v[25:26], v[27:28]
	v_fma_f64 v[25:26], v[68:69], v[29:30], -v[41:42]
	v_fma_f64 v[41:42], v[6:7], v[29:30], v[31:32]
	v_fma_f64 v[6:7], v[64:65], v[33:34], -v[48:49]
	v_fma_f64 v[27:28], v[70:71], v[37:38], -v[74:75]
	v_fma_f64 v[4:5], v[4:5], v[50:51], v[52:53]
	v_fma_f64 v[10:11], v[10:11], v[54:55], v[56:57]
	;; [unrolled: 1-line block ×4, first 2 shown]
	v_fma_f64 v[8:9], v[66:67], v[50:51], -v[76:77]
	v_fma_f64 v[31:32], v[72:73], v[54:55], -v[78:79]
	v_add_f64 v[33:34], v[18:19], v[22:23]
	v_add_f64 v[35:36], v[22:23], v[25:26]
	;; [unrolled: 1-line block ×5, first 2 shown]
	v_add_f64 v[48:49], v[14:15], -v[29:30]
	v_add_f64 v[54:55], v[6:7], -v[27:28]
	v_add_f64 v[6:7], v[14:15], v[29:30]
	v_add_f64 v[14:15], v[0:1], v[14:15]
	;; [unrolled: 1-line block ×4, first 2 shown]
	v_add_f64 v[37:38], v[12:13], -v[41:42]
	v_add_f64 v[12:13], v[12:13], v[41:42]
	v_add_f64 v[62:63], v[4:5], -v[10:11]
	v_add_f64 v[64:65], v[60:61], v[8:9]
	;; [unrolled: 2-line block ×3, first 2 shown]
	v_add_f64 v[4:5], v[33:34], v[25:26]
	v_fma_f64 v[18:19], v[35:36], -0.5, v[18:19]
	v_fma_f64 v[33:34], v[39:40], -0.5, v[58:59]
	;; [unrolled: 1-line block ×4, first 2 shown]
	v_add_f64 v[6:7], v[14:15], v[29:30]
	v_fma_f64 v[14:15], v[56:57], -0.5, v[60:61]
	v_add_f64 v[22:23], v[22:23], -v[25:26]
	v_fma_f64 v[25:26], v[12:13], -0.5, v[20:21]
	v_add_f64 v[8:9], v[50:51], v[27:28]
	v_add_f64 v[12:13], v[64:65], v[31:32]
	v_fma_f64 v[20:21], v[37:38], s[4:5], v[18:19]
	v_fma_f64 v[27:28], v[37:38], s[6:7], v[18:19]
	;; [unrolled: 1-line block ×6, first 2 shown]
	v_add_f64 v[2:3], v[52:53], v[41:42]
	v_fma_f64 v[29:30], v[54:55], s[6:7], v[0:1]
	v_fma_f64 v[33:34], v[54:55], s[4:5], v[0:1]
	;; [unrolled: 1-line block ×4, first 2 shown]
	v_mov_b32_e32 v0, s3
	v_add_co_u32_e32 v14, vcc, s2, v46
	v_addc_co_u32_e32 v15, vcc, v0, v47, vcc
	v_lshlrev_b64 v[0:1], 4, v[44:45]
	v_fma_f64 v[18:19], v[22:23], s[6:7], v[25:26]
	v_add_co_u32_e32 v0, vcc, v14, v0
	v_fma_f64 v[25:26], v[22:23], s[4:5], v[25:26]
	v_addc_co_u32_e32 v1, vcc, v15, v1, vcc
	global_store_dwordx4 v[0:1], v[2:5], off
	v_add_f64 v[10:11], v[70:71], v[10:11]
	v_add_co_u32_e32 v2, vcc, s10, v0
	v_addc_co_u32_e32 v3, vcc, 0, v1, vcc
	v_add_co_u32_e32 v4, vcc, s0, v0
	s_mov_b32 s0, 0xdca8f159
	v_mul_hi_u32 v14, v24, s0
	v_addc_co_u32_e32 v5, vcc, 0, v1, vcc
	global_store_dwordx4 v[2:3], v[25:28], off offset:656
	global_store_dwordx4 v[4:5], v[18:21], off offset:1312
	;; [unrolled: 1-line block ×5, first 2 shown]
	v_lshrrev_b32_e32 v2, 8, v14
	v_mul_u32_u24_e32 v16, 0x252, v2
	v_lshlrev_b64 v[2:3], 4, v[16:17]
	v_add_co_u32_e32 v0, vcc, v0, v2
	v_addc_co_u32_e32 v1, vcc, v1, v3, vcc
	v_add_co_u32_e32 v2, vcc, 0x1000, v0
	v_addc_co_u32_e32 v3, vcc, 0, v1, vcc
	global_store_dwordx4 v[0:1], v[10:13], off offset:3168
	v_add_co_u32_e32 v0, vcc, 0x3000, v0
	v_addc_co_u32_e32 v1, vcc, 0, v1, vcc
	global_store_dwordx4 v[2:3], v[48:51], off offset:3824
	global_store_dwordx4 v[0:1], v[37:40], off offset:384
.LBB0_21:
	s_endpgm
	.section	.rodata,"a",@progbits
	.p2align	6, 0x0
	.amdhsa_kernel fft_rtc_back_len891_factors_9_11_3_3_wgs_198_tpt_99_halfLds_dp_ip_CI_unitstride_sbrr_dirReg
		.amdhsa_group_segment_fixed_size 0
		.amdhsa_private_segment_fixed_size 0
		.amdhsa_kernarg_size 88
		.amdhsa_user_sgpr_count 6
		.amdhsa_user_sgpr_private_segment_buffer 1
		.amdhsa_user_sgpr_dispatch_ptr 0
		.amdhsa_user_sgpr_queue_ptr 0
		.amdhsa_user_sgpr_kernarg_segment_ptr 1
		.amdhsa_user_sgpr_dispatch_id 0
		.amdhsa_user_sgpr_flat_scratch_init 0
		.amdhsa_user_sgpr_private_segment_size 0
		.amdhsa_uses_dynamic_stack 0
		.amdhsa_system_sgpr_private_segment_wavefront_offset 0
		.amdhsa_system_sgpr_workgroup_id_x 1
		.amdhsa_system_sgpr_workgroup_id_y 0
		.amdhsa_system_sgpr_workgroup_id_z 0
		.amdhsa_system_sgpr_workgroup_info 0
		.amdhsa_system_vgpr_workitem_id 0
		.amdhsa_next_free_vgpr 115
		.amdhsa_next_free_sgpr 40
		.amdhsa_reserve_vcc 1
		.amdhsa_reserve_flat_scratch 0
		.amdhsa_float_round_mode_32 0
		.amdhsa_float_round_mode_16_64 0
		.amdhsa_float_denorm_mode_32 3
		.amdhsa_float_denorm_mode_16_64 3
		.amdhsa_dx10_clamp 1
		.amdhsa_ieee_mode 1
		.amdhsa_fp16_overflow 0
		.amdhsa_exception_fp_ieee_invalid_op 0
		.amdhsa_exception_fp_denorm_src 0
		.amdhsa_exception_fp_ieee_div_zero 0
		.amdhsa_exception_fp_ieee_overflow 0
		.amdhsa_exception_fp_ieee_underflow 0
		.amdhsa_exception_fp_ieee_inexact 0
		.amdhsa_exception_int_div_zero 0
	.end_amdhsa_kernel
	.text
.Lfunc_end0:
	.size	fft_rtc_back_len891_factors_9_11_3_3_wgs_198_tpt_99_halfLds_dp_ip_CI_unitstride_sbrr_dirReg, .Lfunc_end0-fft_rtc_back_len891_factors_9_11_3_3_wgs_198_tpt_99_halfLds_dp_ip_CI_unitstride_sbrr_dirReg
                                        ; -- End function
	.section	.AMDGPU.csdata,"",@progbits
; Kernel info:
; codeLenInByte = 8144
; NumSgprs: 44
; NumVgprs: 115
; ScratchSize: 0
; MemoryBound: 1
; FloatMode: 240
; IeeeMode: 1
; LDSByteSize: 0 bytes/workgroup (compile time only)
; SGPRBlocks: 5
; VGPRBlocks: 28
; NumSGPRsForWavesPerEU: 44
; NumVGPRsForWavesPerEU: 115
; Occupancy: 2
; WaveLimiterHint : 1
; COMPUTE_PGM_RSRC2:SCRATCH_EN: 0
; COMPUTE_PGM_RSRC2:USER_SGPR: 6
; COMPUTE_PGM_RSRC2:TRAP_HANDLER: 0
; COMPUTE_PGM_RSRC2:TGID_X_EN: 1
; COMPUTE_PGM_RSRC2:TGID_Y_EN: 0
; COMPUTE_PGM_RSRC2:TGID_Z_EN: 0
; COMPUTE_PGM_RSRC2:TIDIG_COMP_CNT: 0
	.type	__hip_cuid_a619e0b31466b4,@object ; @__hip_cuid_a619e0b31466b4
	.section	.bss,"aw",@nobits
	.globl	__hip_cuid_a619e0b31466b4
__hip_cuid_a619e0b31466b4:
	.byte	0                               ; 0x0
	.size	__hip_cuid_a619e0b31466b4, 1

	.ident	"AMD clang version 19.0.0git (https://github.com/RadeonOpenCompute/llvm-project roc-6.4.0 25133 c7fe45cf4b819c5991fe208aaa96edf142730f1d)"
	.section	".note.GNU-stack","",@progbits
	.addrsig
	.addrsig_sym __hip_cuid_a619e0b31466b4
	.amdgpu_metadata
---
amdhsa.kernels:
  - .args:
      - .actual_access:  read_only
        .address_space:  global
        .offset:         0
        .size:           8
        .value_kind:     global_buffer
      - .offset:         8
        .size:           8
        .value_kind:     by_value
      - .actual_access:  read_only
        .address_space:  global
        .offset:         16
        .size:           8
        .value_kind:     global_buffer
      - .actual_access:  read_only
        .address_space:  global
        .offset:         24
        .size:           8
        .value_kind:     global_buffer
      - .offset:         32
        .size:           8
        .value_kind:     by_value
      - .actual_access:  read_only
        .address_space:  global
        .offset:         40
        .size:           8
        .value_kind:     global_buffer
      - .actual_access:  read_only
        .address_space:  global
        .offset:         48
        .size:           8
        .value_kind:     global_buffer
      - .offset:         56
        .size:           4
        .value_kind:     by_value
      - .actual_access:  read_only
        .address_space:  global
        .offset:         64
        .size:           8
        .value_kind:     global_buffer
      - .actual_access:  read_only
        .address_space:  global
        .offset:         72
        .size:           8
        .value_kind:     global_buffer
      - .address_space:  global
        .offset:         80
        .size:           8
        .value_kind:     global_buffer
    .group_segment_fixed_size: 0
    .kernarg_segment_align: 8
    .kernarg_segment_size: 88
    .language:       OpenCL C
    .language_version:
      - 2
      - 0
    .max_flat_workgroup_size: 198
    .name:           fft_rtc_back_len891_factors_9_11_3_3_wgs_198_tpt_99_halfLds_dp_ip_CI_unitstride_sbrr_dirReg
    .private_segment_fixed_size: 0
    .sgpr_count:     44
    .sgpr_spill_count: 0
    .symbol:         fft_rtc_back_len891_factors_9_11_3_3_wgs_198_tpt_99_halfLds_dp_ip_CI_unitstride_sbrr_dirReg.kd
    .uniform_work_group_size: 1
    .uses_dynamic_stack: false
    .vgpr_count:     115
    .vgpr_spill_count: 0
    .wavefront_size: 64
amdhsa.target:   amdgcn-amd-amdhsa--gfx906
amdhsa.version:
  - 1
  - 2
...

	.end_amdgpu_metadata
